;; amdgpu-corpus repo=ROCm/rocFFT kind=compiled arch=gfx1030 opt=O3
	.text
	.amdgcn_target "amdgcn-amd-amdhsa--gfx1030"
	.amdhsa_code_object_version 6
	.protected	fft_rtc_back_len165_factors_11_5_3_wgs_55_tpt_11_dp_op_CI_CI_unitstride_sbrr_dirReg ; -- Begin function fft_rtc_back_len165_factors_11_5_3_wgs_55_tpt_11_dp_op_CI_CI_unitstride_sbrr_dirReg
	.globl	fft_rtc_back_len165_factors_11_5_3_wgs_55_tpt_11_dp_op_CI_CI_unitstride_sbrr_dirReg
	.p2align	8
	.type	fft_rtc_back_len165_factors_11_5_3_wgs_55_tpt_11_dp_op_CI_CI_unitstride_sbrr_dirReg,@function
fft_rtc_back_len165_factors_11_5_3_wgs_55_tpt_11_dp_op_CI_CI_unitstride_sbrr_dirReg: ; @fft_rtc_back_len165_factors_11_5_3_wgs_55_tpt_11_dp_op_CI_CI_unitstride_sbrr_dirReg
; %bb.0:
	s_load_dwordx4 s[12:15], s[4:5], 0x0
	v_mul_u32_u24_e32 v1, 0x1746, v0
	s_clause 0x1
	s_load_dwordx4 s[8:11], s[4:5], 0x58
	s_load_dwordx4 s[16:19], s[4:5], 0x18
	v_mov_b32_e32 v5, 0
	v_lshrrev_b32_e32 v3, 16, v1
	v_mov_b32_e32 v1, 0
	v_mov_b32_e32 v2, 0
	v_mad_u64_u32 v[3:4], null, s6, 5, v[3:4]
	v_mov_b32_e32 v4, v5
	v_mov_b32_e32 v93, v2
	;; [unrolled: 1-line block ×5, first 2 shown]
	s_waitcnt lgkmcnt(0)
	v_cmp_lt_u64_e64 s0, s[14:15], 2
	s_and_b32 vcc_lo, exec_lo, s0
	s_cbranch_vccnz .LBB0_8
; %bb.1:
	s_load_dwordx2 s[0:1], s[4:5], 0x10
	v_mov_b32_e32 v1, 0
	v_mov_b32_e32 v2, 0
	s_add_u32 s2, s18, 8
	v_mov_b32_e32 v8, v4
	s_addc_u32 s3, s19, 0
	v_mov_b32_e32 v7, v3
	v_mov_b32_e32 v93, v2
	s_add_u32 s6, s16, 8
	v_mov_b32_e32 v92, v1
	s_addc_u32 s7, s17, 0
	s_mov_b64 s[22:23], 1
	s_waitcnt lgkmcnt(0)
	s_add_u32 s20, s0, 8
	s_addc_u32 s21, s1, 0
.LBB0_2:                                ; =>This Inner Loop Header: Depth=1
	s_load_dwordx2 s[24:25], s[20:21], 0x0
                                        ; implicit-def: $vgpr95_vgpr96
	s_mov_b32 s0, exec_lo
	s_waitcnt lgkmcnt(0)
	v_or_b32_e32 v6, s25, v8
	v_cmpx_ne_u64_e32 0, v[5:6]
	s_xor_b32 s1, exec_lo, s0
	s_cbranch_execz .LBB0_4
; %bb.3:                                ;   in Loop: Header=BB0_2 Depth=1
	v_cvt_f32_u32_e32 v4, s24
	v_cvt_f32_u32_e32 v6, s25
	s_sub_u32 s0, 0, s24
	s_subb_u32 s26, 0, s25
	v_fmac_f32_e32 v4, 0x4f800000, v6
	v_rcp_f32_e32 v4, v4
	v_mul_f32_e32 v4, 0x5f7ffffc, v4
	v_mul_f32_e32 v6, 0x2f800000, v4
	v_trunc_f32_e32 v6, v6
	v_fmac_f32_e32 v4, 0xcf800000, v6
	v_cvt_u32_f32_e32 v6, v6
	v_cvt_u32_f32_e32 v4, v4
	v_mul_lo_u32 v9, s0, v6
	v_mul_hi_u32 v10, s0, v4
	v_mul_lo_u32 v11, s26, v4
	v_add_nc_u32_e32 v9, v10, v9
	v_mul_lo_u32 v10, s0, v4
	v_add_nc_u32_e32 v9, v9, v11
	v_mul_hi_u32 v11, v4, v10
	v_mul_lo_u32 v12, v4, v9
	v_mul_hi_u32 v13, v4, v9
	v_mul_hi_u32 v14, v6, v10
	v_mul_lo_u32 v10, v6, v10
	v_mul_hi_u32 v15, v6, v9
	v_mul_lo_u32 v9, v6, v9
	v_add_co_u32 v11, vcc_lo, v11, v12
	v_add_co_ci_u32_e32 v12, vcc_lo, 0, v13, vcc_lo
	v_add_co_u32 v10, vcc_lo, v11, v10
	v_add_co_ci_u32_e32 v10, vcc_lo, v12, v14, vcc_lo
	v_add_co_ci_u32_e32 v11, vcc_lo, 0, v15, vcc_lo
	v_add_co_u32 v9, vcc_lo, v10, v9
	v_add_co_ci_u32_e32 v10, vcc_lo, 0, v11, vcc_lo
	v_add_co_u32 v4, vcc_lo, v4, v9
	v_add_co_ci_u32_e32 v6, vcc_lo, v6, v10, vcc_lo
	v_mul_hi_u32 v9, s0, v4
	v_mul_lo_u32 v11, s26, v4
	v_mul_lo_u32 v10, s0, v6
	v_add_nc_u32_e32 v9, v9, v10
	v_mul_lo_u32 v10, s0, v4
	v_add_nc_u32_e32 v9, v9, v11
	v_mul_hi_u32 v11, v4, v10
	v_mul_lo_u32 v12, v4, v9
	v_mul_hi_u32 v13, v4, v9
	v_mul_hi_u32 v14, v6, v10
	v_mul_lo_u32 v10, v6, v10
	v_mul_hi_u32 v15, v6, v9
	v_mul_lo_u32 v9, v6, v9
	v_add_co_u32 v11, vcc_lo, v11, v12
	v_add_co_ci_u32_e32 v12, vcc_lo, 0, v13, vcc_lo
	v_add_co_u32 v10, vcc_lo, v11, v10
	v_add_co_ci_u32_e32 v10, vcc_lo, v12, v14, vcc_lo
	v_add_co_ci_u32_e32 v11, vcc_lo, 0, v15, vcc_lo
	v_add_co_u32 v9, vcc_lo, v10, v9
	v_add_co_ci_u32_e32 v10, vcc_lo, 0, v11, vcc_lo
	v_add_co_u32 v4, vcc_lo, v4, v9
	v_add_co_ci_u32_e32 v6, vcc_lo, v6, v10, vcc_lo
	v_mul_hi_u32 v15, v7, v4
	v_mad_u64_u32 v[11:12], null, v8, v4, 0
	v_mad_u64_u32 v[9:10], null, v7, v6, 0
	;; [unrolled: 1-line block ×3, first 2 shown]
	v_add_co_u32 v4, vcc_lo, v15, v9
	v_add_co_ci_u32_e32 v6, vcc_lo, 0, v10, vcc_lo
	v_add_co_u32 v4, vcc_lo, v4, v11
	v_add_co_ci_u32_e32 v4, vcc_lo, v6, v12, vcc_lo
	v_add_co_ci_u32_e32 v6, vcc_lo, 0, v14, vcc_lo
	v_add_co_u32 v4, vcc_lo, v4, v13
	v_add_co_ci_u32_e32 v6, vcc_lo, 0, v6, vcc_lo
	v_mul_lo_u32 v11, s25, v4
	v_mad_u64_u32 v[9:10], null, s24, v4, 0
	v_mul_lo_u32 v12, s24, v6
	v_sub_co_u32 v9, vcc_lo, v7, v9
	v_add3_u32 v10, v10, v12, v11
	v_sub_nc_u32_e32 v11, v8, v10
	v_subrev_co_ci_u32_e64 v11, s0, s25, v11, vcc_lo
	v_add_co_u32 v12, s0, v4, 2
	v_add_co_ci_u32_e64 v13, s0, 0, v6, s0
	v_sub_co_u32 v14, s0, v9, s24
	v_sub_co_ci_u32_e32 v10, vcc_lo, v8, v10, vcc_lo
	v_subrev_co_ci_u32_e64 v11, s0, 0, v11, s0
	v_cmp_le_u32_e32 vcc_lo, s24, v14
	v_cmp_eq_u32_e64 s0, s25, v10
	v_cndmask_b32_e64 v14, 0, -1, vcc_lo
	v_cmp_le_u32_e32 vcc_lo, s25, v11
	v_cndmask_b32_e64 v15, 0, -1, vcc_lo
	v_cmp_le_u32_e32 vcc_lo, s24, v9
	;; [unrolled: 2-line block ×3, first 2 shown]
	v_cndmask_b32_e64 v16, 0, -1, vcc_lo
	v_cmp_eq_u32_e32 vcc_lo, s25, v11
	v_cndmask_b32_e64 v9, v16, v9, s0
	v_cndmask_b32_e32 v11, v15, v14, vcc_lo
	v_add_co_u32 v14, vcc_lo, v4, 1
	v_add_co_ci_u32_e32 v15, vcc_lo, 0, v6, vcc_lo
	v_cmp_ne_u32_e32 vcc_lo, 0, v11
	v_cndmask_b32_e32 v10, v15, v13, vcc_lo
	v_cndmask_b32_e32 v11, v14, v12, vcc_lo
	v_cmp_ne_u32_e32 vcc_lo, 0, v9
	v_cndmask_b32_e32 v96, v6, v10, vcc_lo
	v_cndmask_b32_e32 v95, v4, v11, vcc_lo
.LBB0_4:                                ;   in Loop: Header=BB0_2 Depth=1
	s_andn2_saveexec_b32 s0, s1
	s_cbranch_execz .LBB0_6
; %bb.5:                                ;   in Loop: Header=BB0_2 Depth=1
	v_cvt_f32_u32_e32 v4, s24
	s_sub_i32 s1, 0, s24
	v_mov_b32_e32 v96, v5
	v_rcp_iflag_f32_e32 v4, v4
	v_mul_f32_e32 v4, 0x4f7ffffe, v4
	v_cvt_u32_f32_e32 v4, v4
	v_mul_lo_u32 v6, s1, v4
	v_mul_hi_u32 v6, v4, v6
	v_add_nc_u32_e32 v4, v4, v6
	v_mul_hi_u32 v4, v7, v4
	v_mul_lo_u32 v6, v4, s24
	v_add_nc_u32_e32 v9, 1, v4
	v_sub_nc_u32_e32 v6, v7, v6
	v_subrev_nc_u32_e32 v10, s24, v6
	v_cmp_le_u32_e32 vcc_lo, s24, v6
	v_cndmask_b32_e32 v6, v6, v10, vcc_lo
	v_cndmask_b32_e32 v4, v4, v9, vcc_lo
	v_cmp_le_u32_e32 vcc_lo, s24, v6
	v_add_nc_u32_e32 v9, 1, v4
	v_cndmask_b32_e32 v95, v4, v9, vcc_lo
.LBB0_6:                                ;   in Loop: Header=BB0_2 Depth=1
	s_or_b32 exec_lo, exec_lo, s0
	v_mul_lo_u32 v4, v96, s24
	v_mul_lo_u32 v6, v95, s25
	s_load_dwordx2 s[0:1], s[6:7], 0x0
	v_mad_u64_u32 v[9:10], null, v95, s24, 0
	s_load_dwordx2 s[24:25], s[2:3], 0x0
	s_add_u32 s22, s22, 1
	s_addc_u32 s23, s23, 0
	s_add_u32 s2, s2, 8
	s_addc_u32 s3, s3, 0
	s_add_u32 s6, s6, 8
	v_add3_u32 v4, v10, v6, v4
	v_sub_co_u32 v6, vcc_lo, v7, v9
	s_addc_u32 s7, s7, 0
	s_add_u32 s20, s20, 8
	v_sub_co_ci_u32_e32 v4, vcc_lo, v8, v4, vcc_lo
	s_addc_u32 s21, s21, 0
	s_waitcnt lgkmcnt(0)
	v_mul_lo_u32 v7, s0, v4
	v_mul_lo_u32 v8, s1, v6
	v_mad_u64_u32 v[1:2], null, s0, v6, v[1:2]
	v_mul_lo_u32 v4, s24, v4
	v_mul_lo_u32 v9, s25, v6
	v_mad_u64_u32 v[92:93], null, s24, v6, v[92:93]
	v_cmp_ge_u64_e64 s0, s[22:23], s[14:15]
	v_add3_u32 v2, v8, v2, v7
	v_add3_u32 v93, v9, v93, v4
	s_and_b32 vcc_lo, exec_lo, s0
	s_cbranch_vccnz .LBB0_8
; %bb.7:                                ;   in Loop: Header=BB0_2 Depth=1
	v_mov_b32_e32 v7, v95
	v_mov_b32_e32 v8, v96
	s_branch .LBB0_2
.LBB0_8:
	s_load_dwordx2 s[0:1], s[4:5], 0x28
	v_mul_hi_u32 v4, 0xcccccccd, v3
	s_lshl_b64 s[4:5], s[14:15], 3
                                        ; implicit-def: $vgpr94
                                        ; implicit-def: $vgpr88
	s_add_u32 s2, s18, s4
	s_addc_u32 s3, s19, s5
	v_lshrrev_b32_e32 v4, 2, v4
	v_lshl_add_u32 v5, v4, 2, v4
	v_mul_hi_u32 v4, 0x1745d175, v0
	v_sub_nc_u32_e32 v3, v3, v5
	s_waitcnt lgkmcnt(0)
	v_cmp_gt_u64_e32 vcc_lo, s[0:1], v[95:96]
	v_cmp_le_u64_e64 s0, s[0:1], v[95:96]
	s_and_saveexec_b32 s1, s0
	s_xor_b32 s0, exec_lo, s1
; %bb.9:
	v_mul_u32_u24_e32 v1, 11, v4
                                        ; implicit-def: $vgpr4
	v_sub_nc_u32_e32 v94, v0, v1
                                        ; implicit-def: $vgpr0
                                        ; implicit-def: $vgpr1_vgpr2
	v_add_nc_u32_e32 v88, 11, v94
; %bb.10:
	s_or_saveexec_b32 s1, s0
	v_mul_u32_u24_e32 v3, 0xa5, v3
	v_lshlrev_b32_e32 v108, 4, v3
	s_xor_b32 exec_lo, exec_lo, s1
	s_cbranch_execz .LBB0_12
; %bb.11:
	s_add_u32 s4, s16, s4
	s_addc_u32 s5, s17, s5
	v_lshlrev_b64 v[1:2], 4, v[1:2]
	s_load_dwordx2 s[4:5], s[4:5], 0x0
	s_waitcnt lgkmcnt(0)
	v_mul_lo_u32 v3, s5, v95
	v_mul_lo_u32 v7, s4, v96
	v_mad_u64_u32 v[5:6], null, s4, v95, 0
	v_add3_u32 v6, v6, v7, v3
	v_mul_u32_u24_e32 v7, 11, v4
	v_lshlrev_b64 v[3:4], 4, v[5:6]
	v_sub_nc_u32_e32 v94, v0, v7
	v_lshlrev_b32_e32 v60, 4, v94
	v_add_co_u32 v0, s0, s8, v3
	v_add_co_ci_u32_e64 v3, s0, s9, v4, s0
	v_add_nc_u32_e32 v88, 11, v94
	v_add_co_u32 v0, s0, v0, v1
	v_add_co_ci_u32_e64 v1, s0, v3, v2, s0
	v_add_co_u32 v44, s0, v0, v60
	v_add_co_ci_u32_e64 v45, s0, 0, v1, s0
	s_clause 0x7
	global_load_dwordx4 v[0:3], v[44:45], off
	global_load_dwordx4 v[4:7], v[44:45], off offset:176
	global_load_dwordx4 v[8:11], v[44:45], off offset:352
	;; [unrolled: 1-line block ×7, first 2 shown]
	v_add_co_u32 v56, s0, 0x800, v44
	v_add_co_ci_u32_e64 v57, s0, 0, v45, s0
	s_clause 0x6
	global_load_dwordx4 v[32:35], v[44:45], off offset:1408
	global_load_dwordx4 v[36:39], v[44:45], off offset:1584
	;; [unrolled: 1-line block ×7, first 2 shown]
	v_add3_u32 v60, 0, v108, v60
	s_waitcnt vmcnt(14)
	ds_write_b128 v60, v[0:3]
	s_waitcnt vmcnt(13)
	ds_write_b128 v60, v[4:7] offset:176
	s_waitcnt vmcnt(12)
	ds_write_b128 v60, v[8:11] offset:352
	;; [unrolled: 2-line block ×14, first 2 shown]
.LBB0_12:
	s_or_b32 exec_lo, exec_lo, s1
	v_lshlrev_b32_e32 v0, 4, v94
	v_add_nc_u32_e32 v105, 0, v108
	s_load_dwordx2 s[2:3], s[2:3], 0x0
	s_waitcnt lgkmcnt(0)
	s_barrier
	v_add_nc_u32_e32 v1, 0, v0
	v_add_nc_u32_e32 v107, v105, v0
	buffer_gl0_inv
	s_mov_b32 s28, 0xf8bb580b
	s_mov_b32 s24, 0x8eee2c13
	v_add_nc_u32_e32 v106, v1, v108
	s_mov_b32 s22, 0x43842ef
	s_mov_b32 s16, 0xbb3a28a1
	;; [unrolled: 1-line block ×4, first 2 shown]
	ds_read_b128 v[48:51], v106 offset:240
	ds_read_b128 v[28:31], v107
	ds_read_b128 v[0:3], v106 offset:176
	ds_read_b128 v[4:7], v106 offset:416
	;; [unrolled: 1-line block ×7, first 2 shown]
	s_mov_b32 s20, 0xd9c712b6
	s_mov_b32 s8, 0x640f44db
	;; [unrolled: 1-line block ×14, first 2 shown]
	s_waitcnt lgkmcnt(7)
	v_add_f64 v[8:9], v[28:29], v[48:49]
	v_add_f64 v[10:11], v[30:31], v[50:51]
	s_mov_b32 s27, 0x3fe14ced
	s_mov_b32 s37, 0x3fed1bb4
	;; [unrolled: 1-line block ×10, first 2 shown]
	s_waitcnt lgkmcnt(4)
	v_add_f64 v[8:9], v[8:9], v[52:53]
	v_add_f64 v[10:11], v[10:11], v[54:55]
	s_waitcnt lgkmcnt(2)
	v_add_f64 v[12:13], v[8:9], v[60:61]
	v_add_f64 v[14:15], v[10:11], v[62:63]
	ds_read_b128 v[56:59], v106 offset:2400
	ds_read_b128 v[8:11], v106 offset:1136
	;; [unrolled: 1-line block ×5, first 2 shown]
	s_waitcnt lgkmcnt(4)
	v_add_f64 v[89:90], v[50:51], -v[58:59]
	v_add_f64 v[24:25], v[12:13], v[64:65]
	v_add_f64 v[26:27], v[14:15], v[66:67]
	;; [unrolled: 1-line block ×3, first 2 shown]
	ds_read_b128 v[80:83], v106 offset:2160
	ds_read_b128 v[84:87], v106 offset:1920
	;; [unrolled: 1-line block ×4, first 2 shown]
	s_waitcnt lgkmcnt(5)
	v_add_f64 v[101:102], v[68:69], v[72:73]
	v_add_f64 v[103:104], v[70:71], v[74:75]
	;; [unrolled: 1-line block ×3, first 2 shown]
	v_add_f64 v[48:49], v[48:49], -v[56:57]
	s_waitcnt lgkmcnt(4)
	v_add_f64 v[109:110], v[64:65], v[76:77]
	v_add_f64 v[111:112], v[66:67], v[78:79]
	v_add_f64 v[64:65], v[64:65], -v[76:77]
	v_add_f64 v[66:67], v[66:67], -v[78:79]
	s_waitcnt lgkmcnt(3)
	v_add_f64 v[113:114], v[54:55], -v[82:83]
	v_add_f64 v[54:55], v[54:55], v[82:83]
	v_add_f64 v[97:98], v[24:25], v[68:69]
	;; [unrolled: 1-line block ×3, first 2 shown]
	v_add_f64 v[68:69], v[68:69], -v[72:73]
	v_add_f64 v[70:71], v[70:71], -v[74:75]
	v_mul_f64 v[119:120], v[89:90], s[28:29]
	v_mul_f64 v[121:122], v[50:51], s[20:21]
	;; [unrolled: 1-line block ×6, first 2 shown]
	s_waitcnt lgkmcnt(2)
	v_add_f64 v[115:116], v[62:63], -v[86:87]
	v_add_f64 v[125:126], v[52:53], v[80:81]
	v_add_f64 v[52:53], v[52:53], -v[80:81]
	v_add_f64 v[62:63], v[62:63], v[86:87]
	v_add_f64 v[123:124], v[60:61], v[84:85]
	v_add_f64 v[60:61], v[60:61], -v[84:85]
	ds_read_b128 v[44:47], v106 offset:1616
	ds_read_b128 v[40:43], v106 offset:1856
	;; [unrolled: 1-line block ×4, first 2 shown]
	s_waitcnt lgkmcnt(0)
	s_barrier
	buffer_gl0_inv
	v_mul_f64 v[135:136], v[113:114], s[24:25]
	v_mul_f64 v[137:138], v[54:55], s[20:21]
	v_add_f64 v[72:73], v[97:98], v[72:73]
	v_add_f64 v[74:75], v[99:100], v[74:75]
	v_mul_f64 v[97:98], v[50:51], s[4:5]
	v_mul_f64 v[99:100], v[89:90], s[24:25]
	;; [unrolled: 1-line block ×6, first 2 shown]
	v_fma_f64 v[147:148], v[117:118], s[4:5], v[119:120]
	v_fma_f64 v[149:150], v[48:49], s[36:37], v[121:122]
	;; [unrolled: 1-line block ×3, first 2 shown]
	v_fma_f64 v[119:120], v[117:118], s[4:5], -v[119:120]
	v_fma_f64 v[151:152], v[117:118], s[8:9], v[127:128]
	v_fma_f64 v[127:128], v[117:118], s[8:9], -v[127:128]
	v_fma_f64 v[153:154], v[117:118], s[6:7], v[129:130]
	v_fma_f64 v[155:156], v[48:49], s[30:31], v[131:132]
	v_fma_f64 v[129:130], v[117:118], s[6:7], -v[129:130]
	v_fma_f64 v[131:132], v[48:49], s[22:23], v[131:132]
	v_mul_f64 v[143:144], v[113:114], s[34:35]
	v_mul_f64 v[145:146], v[54:55], s[18:19]
	v_add_f64 v[72:73], v[72:73], v[76:77]
	v_add_f64 v[74:75], v[74:75], v[78:79]
	v_fma_f64 v[76:77], v[48:49], s[26:27], v[97:98]
	v_fma_f64 v[78:79], v[117:118], s[20:21], v[99:100]
	v_fma_f64 v[99:100], v[117:118], s[20:21], -v[99:100]
	v_fma_f64 v[97:98], v[48:49], s[28:29], v[97:98]
	v_fma_f64 v[157:158], v[117:118], s[18:19], v[89:90]
	v_fma_f64 v[89:90], v[117:118], s[18:19], -v[89:90]
	v_fma_f64 v[117:118], v[48:49], s[0:1], v[133:134]
	v_fma_f64 v[133:134], v[48:49], s[16:17], v[133:134]
	;; [unrolled: 1-line block ×5, first 2 shown]
	v_add_f64 v[147:148], v[28:29], v[147:148]
	v_add_f64 v[149:150], v[30:31], v[149:150]
	;; [unrolled: 1-line block ×11, first 2 shown]
	v_fma_f64 v[84:85], v[52:53], s[36:37], v[137:138]
	v_fma_f64 v[86:87], v[125:126], s[6:7], v[139:140]
	v_add_f64 v[76:77], v[30:31], v[76:77]
	v_add_f64 v[78:79], v[28:29], v[78:79]
	;; [unrolled: 1-line block ×11, first 2 shown]
	v_fma_f64 v[48:49], v[52:53], s[0:1], v[141:142]
	v_mul_f64 v[89:90], v[115:116], s[22:23]
	v_fma_f64 v[139:140], v[125:126], s[6:7], -v[139:140]
	v_fma_f64 v[141:142], v[52:53], s[16:17], v[141:142]
	v_add_f64 v[50:51], v[50:51], v[147:148]
	v_fma_f64 v[147:148], v[125:126], s[18:19], v[143:144]
	v_fma_f64 v[143:144], v[125:126], s[18:19], -v[143:144]
	v_add_f64 v[72:73], v[72:73], v[80:81]
	v_add_f64 v[74:75], v[74:75], v[82:83]
	v_mul_f64 v[82:83], v[115:116], s[34:35]
	v_mul_f64 v[80:81], v[62:63], s[8:9]
	v_add_f64 v[76:77], v[84:85], v[76:77]
	v_fma_f64 v[84:85], v[52:53], s[14:15], v[145:146]
	v_add_f64 v[78:79], v[86:87], v[78:79]
	v_mul_f64 v[86:87], v[62:63], s[18:19]
	v_fma_f64 v[145:146], v[52:53], s[34:35], v[145:146]
	v_add_f64 v[48:49], v[48:49], v[149:150]
	v_fma_f64 v[149:150], v[123:124], s[8:9], v[89:90]
	v_add_f64 v[99:100], v[139:140], v[99:100]
	v_add_f64 v[121:122], v[141:142], v[121:122]
	v_mul_f64 v[139:140], v[115:116], s[36:37]
	v_add_f64 v[147:148], v[147:148], v[151:152]
	v_add_f64 v[127:128], v[143:144], v[127:128]
	v_mul_f64 v[143:144], v[62:63], s[20:21]
	v_fma_f64 v[89:90], v[123:124], s[8:9], -v[89:90]
	v_fma_f64 v[151:152], v[123:124], s[18:19], v[82:83]
	v_fma_f64 v[82:83], v[123:124], s[18:19], -v[82:83]
	v_fma_f64 v[141:142], v[60:61], s[30:31], v[80:81]
	v_add_f64 v[84:85], v[84:85], v[155:156]
	v_fma_f64 v[155:156], v[60:61], s[14:15], v[86:87]
	v_fma_f64 v[86:87], v[60:61], s[34:35], v[86:87]
	v_add_f64 v[131:132], v[145:146], v[131:132]
	v_add_f64 v[50:51], v[149:150], v[50:51]
	v_mul_f64 v[149:150], v[66:67], s[16:17]
	v_add_f64 v[78:79], v[151:152], v[78:79]
	v_add_f64 v[82:83], v[82:83], v[99:100]
	;; [unrolled: 1-line block ×3, first 2 shown]
	v_mul_f64 v[141:142], v[111:112], s[6:7]
	v_fma_f64 v[151:152], v[123:124], s[20:21], v[139:140]
	v_add_f64 v[48:49], v[155:156], v[48:49]
	v_add_f64 v[86:87], v[86:87], v[121:122]
	v_mul_f64 v[121:122], v[66:67], s[30:31]
	v_fma_f64 v[155:156], v[60:61], s[24:25], v[143:144]
	v_fma_f64 v[139:140], v[123:124], s[20:21], -v[139:140]
	v_fma_f64 v[143:144], v[60:61], s[36:37], v[143:144]
	v_fma_f64 v[99:100], v[109:110], s[6:7], v[149:150]
	v_add_f64 v[147:148], v[151:152], v[147:148]
	v_fma_f64 v[151:152], v[64:65], s[0:1], v[141:142]
	v_add_f64 v[84:85], v[155:156], v[84:85]
	v_mul_f64 v[155:156], v[111:112], s[8:9]
	v_add_f64 v[127:128], v[139:140], v[127:128]
	v_add_f64 v[131:132], v[143:144], v[131:132]
	;; [unrolled: 1-line block ×3, first 2 shown]
	v_fma_f64 v[99:100], v[109:110], s[8:9], v[121:122]
	v_fma_f64 v[121:122], v[109:110], s[8:9], -v[121:122]
	v_add_f64 v[76:77], v[151:152], v[76:77]
	v_fma_f64 v[151:152], v[64:65], s[22:23], v[155:156]
	v_fma_f64 v[155:156], v[64:65], s[30:31], v[155:156]
	v_add_f64 v[78:79], v[99:100], v[78:79]
	v_mul_f64 v[99:100], v[113:114], s[30:31]
	v_add_f64 v[82:83], v[121:122], v[82:83]
	v_mul_f64 v[113:114], v[113:114], s[26:27]
	;; [unrolled: 2-line block ×4, first 2 shown]
	v_fma_f64 v[121:122], v[125:126], s[8:9], v[99:100]
	v_fma_f64 v[99:100], v[125:126], s[8:9], -v[99:100]
	v_fma_f64 v[139:140], v[125:126], s[4:5], v[113:114]
	v_fma_f64 v[113:114], v[125:126], s[4:5], -v[113:114]
	v_fma_f64 v[125:126], v[125:126], s[20:21], -v[135:136]
	v_fma_f64 v[145:146], v[52:53], s[22:23], v[48:49]
	v_fma_f64 v[48:49], v[52:53], s[30:31], v[48:49]
	v_add_f64 v[121:122], v[121:122], v[153:154]
	v_mul_f64 v[153:154], v[66:67], s[28:29]
	v_add_f64 v[99:100], v[99:100], v[129:130]
	v_add_f64 v[139:140], v[139:140], v[157:158]
	v_mul_f64 v[157:158], v[66:67], s[14:15]
	v_add_f64 v[28:29], v[113:114], v[28:29]
	v_add_f64 v[119:120], v[125:126], v[119:120]
	v_mul_f64 v[66:67], v[66:67], s[36:37]
	v_mul_f64 v[125:126], v[103:104], s[4:5]
	v_add_f64 v[117:118], v[145:146], v[117:118]
	v_mul_f64 v[145:146], v[111:112], s[4:5]
	v_add_f64 v[48:49], v[48:49], v[133:134]
	v_mul_f64 v[133:134], v[70:71], s[26:27]
	v_fma_f64 v[155:156], v[109:110], s[4:5], v[153:154]
	v_fma_f64 v[153:154], v[109:110], s[4:5], -v[153:154]
	v_add_f64 v[89:90], v[89:90], v[119:120]
	v_fma_f64 v[119:120], v[109:110], s[20:21], v[66:67]
	v_fma_f64 v[66:67], v[109:110], s[20:21], -v[66:67]
	v_fma_f64 v[129:130], v[64:65], s[26:27], v[145:146]
	v_fma_f64 v[145:146], v[64:65], s[28:29], v[145:146]
	v_add_f64 v[147:148], v[155:156], v[147:148]
	v_mul_f64 v[155:156], v[115:116], s[28:29]
	v_mul_f64 v[115:116], v[115:116], s[16:17]
	v_add_f64 v[127:128], v[153:154], v[127:128]
	v_add_f64 v[84:85], v[129:130], v[84:85]
	v_mul_f64 v[129:130], v[62:63], s[4:5]
	v_mul_f64 v[62:63], v[62:63], s[6:7]
	v_add_f64 v[131:132], v[145:146], v[131:132]
	v_fma_f64 v[135:136], v[123:124], s[4:5], v[155:156]
	v_fma_f64 v[155:156], v[123:124], s[4:5], -v[155:156]
	v_fma_f64 v[143:144], v[60:61], s[26:27], v[129:130]
	v_fma_f64 v[129:130], v[60:61], s[28:29], v[129:130]
	;; [unrolled: 1-line block ×5, first 2 shown]
	v_mul_f64 v[80:81], v[111:112], s[20:21]
	v_add_f64 v[121:122], v[135:136], v[121:122]
	v_fma_f64 v[135:136], v[52:53], s[28:29], v[54:55]
	v_fma_f64 v[54:55], v[52:53], s[26:27], v[54:55]
	;; [unrolled: 1-line block ×3, first 2 shown]
	v_mul_f64 v[137:138], v[70:71], s[14:15]
	v_add_f64 v[117:118], v[143:144], v[117:118]
	v_mul_f64 v[143:144], v[103:104], s[18:19]
	v_add_f64 v[48:49], v[129:130], v[48:49]
	;; [unrolled: 2-line block ×3, first 2 shown]
	v_fma_f64 v[159:160], v[123:124], s[6:7], v[115:116]
	v_add_f64 v[30:31], v[54:55], v[30:31]
	v_mul_f64 v[54:55], v[111:112], s[18:19]
	v_fma_f64 v[115:116], v[123:124], s[6:7], -v[115:116]
	v_add_f64 v[52:53], v[52:53], v[97:98]
	v_add_f64 v[97:98], v[155:156], v[99:100]
	v_mul_f64 v[155:156], v[70:71], s[16:17]
	v_fma_f64 v[123:124], v[101:102], s[18:19], v[137:138]
	v_fma_f64 v[111:112], v[101:102], s[4:5], v[133:134]
	v_fma_f64 v[133:134], v[101:102], s[4:5], -v[133:134]
	v_fma_f64 v[99:100], v[68:69], s[34:35], v[143:144]
	v_fma_f64 v[153:154], v[68:69], s[0:1], v[129:130]
	;; [unrolled: 1-line block ×3, first 2 shown]
	s_mov_b32 s1, exec_lo
	v_add_f64 v[113:114], v[113:114], v[135:136]
	v_add_f64 v[139:140], v[159:160], v[139:140]
	v_fma_f64 v[159:160], v[109:110], s[18:19], v[157:158]
	v_fma_f64 v[135:136], v[64:65], s[34:35], v[54:55]
	v_add_f64 v[28:29], v[115:116], v[28:29]
	v_mul_f64 v[115:116], v[70:71], s[36:37]
	v_add_f64 v[30:31], v[62:63], v[30:31]
	v_mul_f64 v[62:63], v[103:104], s[20:21]
	v_add_f64 v[52:53], v[60:61], v[52:53]
	v_fma_f64 v[60:61], v[64:65], s[24:25], v[80:81]
	v_mul_f64 v[70:71], v[70:71], s[22:23]
	v_mul_f64 v[103:104], v[103:104], s[8:9]
	v_fma_f64 v[80:81], v[64:65], s[36:37], v[80:81]
	v_fma_f64 v[157:158], v[109:110], s[18:19], -v[157:158]
	v_fma_f64 v[54:55], v[64:65], s[14:15], v[54:55]
	v_fma_f64 v[109:110], v[109:110], s[6:7], -v[149:150]
	v_fma_f64 v[64:65], v[64:65], s[16:17], v[141:142]
	v_fma_f64 v[149:150], v[68:69], s[28:29], v[125:126]
	;; [unrolled: 1-line block ×3, first 2 shown]
	v_fma_f64 v[145:146], v[101:102], s[6:7], -v[155:156]
	v_fma_f64 v[125:126], v[68:69], s[26:27], v[125:126]
	v_add_f64 v[119:120], v[119:120], v[139:140]
	v_add_f64 v[121:122], v[159:160], v[121:122]
	;; [unrolled: 1-line block ×4, first 2 shown]
	v_fma_f64 v[135:136], v[101:102], s[20:21], v[115:116]
	v_fma_f64 v[115:116], v[101:102], s[20:21], -v[115:116]
	v_fma_f64 v[155:156], v[68:69], s[24:25], v[62:63]
	v_fma_f64 v[163:164], v[68:69], s[36:37], v[62:63]
	v_add_f64 v[113:114], v[60:61], v[113:114]
	v_fma_f64 v[139:140], v[101:102], s[8:9], v[70:71]
	v_fma_f64 v[159:160], v[68:69], s[30:31], v[103:104]
	v_add_f64 v[80:81], v[80:81], v[30:31]
	v_fma_f64 v[161:162], v[101:102], s[8:9], -v[70:71]
	v_fma_f64 v[103:104], v[68:69], s[22:23], v[103:104]
	v_add_f64 v[97:98], v[157:158], v[97:98]
	v_add_f64 v[157:158], v[54:55], v[48:49]
	;; [unrolled: 1-line block ×4, first 2 shown]
	v_fma_f64 v[101:102], v[101:102], s[18:19], -v[137:138]
	v_fma_f64 v[137:138], v[68:69], s[14:15], v[143:144]
	v_add_f64 v[28:29], v[72:73], v[56:57]
	v_add_f64 v[30:31], v[74:75], v[58:59]
	;; [unrolled: 1-line block ×22, first 2 shown]
	v_mad_u32_u24 v89, 0xb0, v94, v105
	ds_write_b128 v89, v[28:31]
	ds_write_b128 v89, v[48:51] offset:16
	ds_write_b128 v89, v[52:55] offset:32
	;; [unrolled: 1-line block ×10, first 2 shown]
	v_cmpx_gt_u32_e32 4, v94
	s_cbranch_execz .LBB0_14
; %bb.13:
	v_add_f64 v[70:71], v[4:5], -v[20:21]
	v_add_f64 v[82:83], v[6:7], -v[22:23]
	;; [unrolled: 1-line block ×4, first 2 shown]
	v_add_f64 v[74:75], v[6:7], v[22:23]
	v_add_f64 v[78:79], v[4:5], v[20:21]
	;; [unrolled: 1-line block ×3, first 2 shown]
	v_add_f64 v[64:65], v[16:17], -v[36:37]
	v_add_f64 v[66:67], v[18:19], -v[38:39]
	v_add_f64 v[68:69], v[34:35], v[26:27]
	v_add_f64 v[72:73], v[32:33], v[24:25]
	;; [unrolled: 1-line block ×3, first 2 shown]
	v_add_f64 v[56:57], v[8:9], -v[40:41]
	v_add_f64 v[58:59], v[10:11], -v[42:43]
	v_add_f64 v[60:61], v[18:19], v[38:39]
	v_add_f64 v[62:63], v[16:17], v[36:37]
	;; [unrolled: 1-line block ×4, first 2 shown]
	v_add_f64 v[48:49], v[12:13], -v[44:45]
	v_add_f64 v[28:29], v[14:15], v[46:47]
	v_add_f64 v[30:31], v[12:13], v[44:45]
	v_add_f64 v[50:51], v[14:15], -v[46:47]
	v_mul_f64 v[84:85], v[70:71], s[14:15]
	v_mul_f64 v[86:87], v[82:83], s[14:15]
	;; [unrolled: 1-line block ×8, first 2 shown]
	v_add_f64 v[6:7], v[6:7], v[34:35]
	v_mul_f64 v[127:128], v[82:83], s[22:23]
	v_mul_f64 v[103:104], v[64:65], s[16:17]
	;; [unrolled: 1-line block ×6, first 2 shown]
	v_add_f64 v[4:5], v[4:5], v[32:33]
	v_mul_f64 v[32:33], v[80:81], s[34:35]
	v_mul_f64 v[101:102], v[56:57], s[36:37]
	v_mul_f64 v[115:116], v[58:59], s[36:37]
	v_mul_f64 v[123:124], v[56:57], s[14:15]
	v_mul_f64 v[137:138], v[66:67], s[28:29]
	v_mul_f64 v[147:148], v[64:65], s[36:37]
	v_fma_f64 v[133:134], v[74:75], s[18:19], v[84:85]
	v_fma_f64 v[135:136], v[78:79], s[18:19], -v[86:87]
	v_fma_f64 v[84:85], v[74:75], s[18:19], -v[84:85]
	v_fma_f64 v[86:87], v[78:79], s[18:19], v[86:87]
	v_fma_f64 v[34:35], v[74:75], s[6:7], v[89:90]
	v_fma_f64 v[151:152], v[78:79], s[6:7], -v[97:98]
	v_fma_f64 v[97:98], v[78:79], s[6:7], v[97:98]
	v_fma_f64 v[153:154], v[68:69], s[4:5], v[109:110]
	v_fma_f64 v[155:156], v[72:73], s[4:5], -v[119:120]
	v_fma_f64 v[109:110], v[68:69], s[4:5], -v[109:110]
	v_fma_f64 v[119:120], v[72:73], s[4:5], v[119:120]
	v_fma_f64 v[159:160], v[74:75], s[8:9], v[113:114]
	;; [unrolled: 1-line block ×3, first 2 shown]
	v_fma_f64 v[89:90], v[74:75], s[6:7], -v[89:90]
	v_fma_f64 v[163:164], v[78:79], s[8:9], -v[127:128]
	;; [unrolled: 1-line block ×3, first 2 shown]
	v_fma_f64 v[129:130], v[72:73], s[8:9], v[129:130]
	v_fma_f64 v[167:168], v[68:69], s[18:19], v[139:140]
	v_add_f64 v[6:7], v[6:7], v[18:19]
	v_add_f64 v[4:5], v[4:5], v[16:17]
	v_fma_f64 v[16:17], v[60:61], s[6:7], v[103:104]
	v_fma_f64 v[103:104], v[60:61], s[6:7], -v[103:104]
	v_add_f64 v[133:134], v[2:3], v[133:134]
	v_add_f64 v[135:136], v[0:1], v[135:136]
	;; [unrolled: 1-line block ×6, first 2 shown]
	v_fma_f64 v[151:152], v[62:63], s[6:7], -v[117:118]
	v_fma_f64 v[117:118], v[62:63], s[6:7], v[117:118]
	v_add_f64 v[97:98], v[0:1], v[97:98]
	v_mul_f64 v[157:158], v[66:67], s[36:37]
	v_fma_f64 v[125:126], v[68:69], s[8:9], -v[125:126]
	v_mul_f64 v[143:144], v[58:59], s[14:15]
	v_mul_f64 v[145:146], v[56:57], s[28:29]
	v_add_f64 v[89:90], v[2:3], v[89:90]
	v_add_f64 v[163:164], v[0:1], v[163:164]
	v_fma_f64 v[169:170], v[54:55], s[20:21], -v[115:116]
	v_fma_f64 v[115:116], v[54:55], s[20:21], v[115:116]
	v_mul_f64 v[149:150], v[58:59], s[28:29]
	v_fma_f64 v[113:114], v[74:75], s[8:9], -v[113:114]
	v_add_f64 v[6:7], v[6:7], v[10:11]
	v_add_f64 v[4:5], v[4:5], v[8:9]
	v_mul_f64 v[121:122], v[48:49], s[36:37]
	v_add_f64 v[133:134], v[153:154], v[133:134]
	v_add_f64 v[135:136], v[155:156], v[135:136]
	;; [unrolled: 1-line block ×4, first 2 shown]
	v_fma_f64 v[119:120], v[60:61], s[4:5], v[131:132]
	v_add_f64 v[155:156], v[2:3], v[159:160]
	v_add_f64 v[34:35], v[161:162], v[34:35]
	v_fma_f64 v[109:110], v[72:73], s[18:19], -v[32:33]
	v_fma_f64 v[153:154], v[62:63], s[4:5], -v[137:138]
	v_fma_f64 v[161:162], v[52:53], s[20:21], v[101:102]
	v_add_f64 v[18:19], v[165:166], v[18:19]
	v_fma_f64 v[101:102], v[52:53], s[20:21], -v[101:102]
	v_add_f64 v[97:98], v[129:130], v[97:98]
	v_fma_f64 v[131:132], v[60:61], s[4:5], -v[131:132]
	v_add_f64 v[89:90], v[125:126], v[89:90]
	v_fma_f64 v[137:138], v[62:63], s[4:5], v[137:138]
	v_fma_f64 v[32:33], v[72:73], s[18:19], v[32:33]
	v_fma_f64 v[139:140], v[68:69], s[18:19], -v[139:140]
	v_add_f64 v[113:114], v[2:3], v[113:114]
	v_mul_f64 v[8:9], v[82:83], s[28:29]
	v_mul_f64 v[10:11], v[82:83], s[24:25]
	v_add_f64 v[6:7], v[6:7], v[14:15]
	v_add_f64 v[16:17], v[16:17], v[133:134]
	v_fma_f64 v[133:134], v[54:55], s[18:19], -v[143:144]
	v_add_f64 v[84:85], v[103:104], v[84:85]
	v_add_f64 v[86:87], v[117:118], v[86:87]
	v_fma_f64 v[103:104], v[78:79], s[8:9], v[127:128]
	v_fma_f64 v[117:118], v[60:61], s[20:21], v[147:148]
	;; [unrolled: 1-line block ×3, first 2 shown]
	v_add_f64 v[129:130], v[167:168], v[155:156]
	v_add_f64 v[34:35], v[119:120], v[34:35]
	v_fma_f64 v[119:120], v[62:63], s[20:21], -v[157:158]
	v_add_f64 v[109:110], v[109:110], v[163:164]
	v_add_f64 v[18:19], v[153:154], v[18:19]
	;; [unrolled: 1-line block ×5, first 2 shown]
	v_fma_f64 v[131:132], v[54:55], s[4:5], -v[149:150]
	v_add_f64 v[97:98], v[137:138], v[97:98]
	v_fma_f64 v[135:136], v[28:29], s[20:21], v[121:122]
	v_fma_f64 v[82:83], v[28:29], s[20:21], -v[121:122]
	v_fma_f64 v[121:122], v[60:61], s[20:21], -v[147:148]
	v_add_f64 v[113:114], v[139:140], v[113:114]
	v_mul_f64 v[139:140], v[80:81], s[16:17]
	v_mul_f64 v[80:81], v[80:81], s[24:25]
	v_fma_f64 v[12:13], v[78:79], s[4:5], v[8:9]
	v_add_f64 v[84:85], v[101:102], v[84:85]
	v_add_f64 v[86:87], v[115:116], v[86:87]
	;; [unrolled: 1-line block ×3, first 2 shown]
	v_fma_f64 v[115:116], v[52:53], s[4:5], v[145:146]
	v_fma_f64 v[143:144], v[54:55], s[18:19], v[143:144]
	v_add_f64 v[117:118], v[117:118], v[129:130]
	v_add_f64 v[34:35], v[127:128], v[34:35]
	v_mul_f64 v[127:128], v[70:71], s[24:25]
	v_add_f64 v[109:110], v[119:120], v[109:110]
	v_mul_f64 v[70:71], v[70:71], s[28:29]
	v_add_f64 v[18:19], v[133:134], v[18:19]
	v_fma_f64 v[133:134], v[62:63], s[20:21], v[157:158]
	v_fma_f64 v[14:15], v[78:79], s[20:21], v[10:11]
	v_fma_f64 v[10:11], v[78:79], s[20:21], -v[10:11]
	v_fma_f64 v[8:9], v[78:79], s[4:5], -v[8:9]
	v_add_f64 v[6:7], v[6:7], v[46:47]
	v_add_f64 v[4:5], v[4:5], v[44:45]
	v_mul_f64 v[78:79], v[66:67], s[34:35]
	v_add_f64 v[113:114], v[121:122], v[113:114]
	v_fma_f64 v[121:122], v[54:55], s[4:5], v[149:150]
	v_mul_f64 v[66:67], v[66:67], s[22:23]
	v_fma_f64 v[149:150], v[72:73], s[20:21], v[80:81]
	v_add_f64 v[12:13], v[0:1], v[12:13]
	v_mul_f64 v[99:100], v[48:49], s[22:23]
	v_add_f64 v[32:33], v[32:33], v[101:102]
	v_mul_f64 v[111:112], v[50:51], s[22:23]
	v_add_f64 v[97:98], v[143:144], v[97:98]
	v_add_f64 v[115:116], v[115:116], v[117:118]
	v_mul_f64 v[117:118], v[76:77], s[16:17]
	v_fma_f64 v[137:138], v[74:75], s[20:21], -v[127:128]
	v_add_f64 v[109:110], v[131:132], v[109:110]
	v_mul_f64 v[76:77], v[76:77], s[24:25]
	v_fma_f64 v[131:132], v[74:75], s[4:5], -v[70:71]
	v_fma_f64 v[127:128], v[74:75], s[20:21], v[127:128]
	v_fma_f64 v[70:71], v[74:75], s[4:5], v[70:71]
	v_mul_f64 v[74:75], v[64:65], s[34:35]
	v_mul_f64 v[64:65], v[64:65], s[22:23]
	v_fma_f64 v[143:144], v[52:53], s[4:5], -v[145:146]
	v_fma_f64 v[145:146], v[72:73], s[6:7], v[139:140]
	v_add_f64 v[14:15], v[0:1], v[14:15]
	v_add_f64 v[10:11], v[0:1], v[10:11]
	;; [unrolled: 1-line block ×3, first 2 shown]
	v_mul_f64 v[8:9], v[56:57], s[30:31]
	v_add_f64 v[6:7], v[6:7], v[42:43]
	v_add_f64 v[4:5], v[4:5], v[40:41]
	v_mul_f64 v[56:57], v[56:57], s[16:17]
	v_add_f64 v[32:33], v[133:134], v[32:33]
	v_add_f64 v[12:13], v[149:150], v[12:13]
	v_mul_f64 v[141:142], v[50:51], s[36:37]
	v_mul_f64 v[103:104], v[48:49], s[16:17]
	v_fma_f64 v[133:134], v[68:69], s[6:7], -v[117:118]
	v_add_f64 v[137:138], v[2:3], v[137:138]
	v_fma_f64 v[44:45], v[68:69], s[6:7], v[117:118]
	v_fma_f64 v[147:148], v[68:69], s[20:21], -v[76:77]
	v_add_f64 v[131:132], v[2:3], v[131:132]
	v_add_f64 v[46:47], v[2:3], v[127:128]
	v_fma_f64 v[117:118], v[72:73], s[6:7], -v[139:140]
	v_fma_f64 v[68:69], v[68:69], s[20:21], v[76:77]
	v_add_f64 v[2:3], v[2:3], v[70:71]
	v_fma_f64 v[70:71], v[72:73], s[20:21], -v[80:81]
	v_fma_f64 v[76:77], v[60:61], s[18:19], -v[74:75]
	v_mul_f64 v[72:73], v[58:59], s[30:31]
	v_mul_f64 v[58:59], v[58:59], s[16:17]
	v_fma_f64 v[127:128], v[62:63], s[18:19], v[78:79]
	v_add_f64 v[14:15], v[145:146], v[14:15]
	v_fma_f64 v[40:41], v[60:61], s[18:19], v[74:75]
	v_add_f64 v[6:7], v[6:7], v[38:39]
	v_add_f64 v[4:5], v[4:5], v[36:37]
	v_mul_f64 v[129:130], v[50:51], s[16:17]
	v_fma_f64 v[74:75], v[52:53], s[6:7], -v[56:57]
	v_fma_f64 v[123:124], v[52:53], s[18:19], -v[123:124]
	v_fma_f64 v[159:160], v[28:29], s[8:9], v[99:100]
	v_add_f64 v[16:17], v[161:162], v[16:17]
	v_add_f64 v[80:81], v[133:134], v[137:138]
	v_fma_f64 v[133:134], v[60:61], s[8:9], -v[64:65]
	v_fma_f64 v[137:138], v[62:63], s[8:9], v[66:67]
	v_add_f64 v[131:132], v[147:148], v[131:132]
	v_add_f64 v[42:43], v[44:45], v[46:47]
	v_fma_f64 v[44:45], v[62:63], s[18:19], -v[78:79]
	v_add_f64 v[10:11], v[117:118], v[10:11]
	v_fma_f64 v[46:47], v[60:61], s[8:9], v[64:65]
	v_add_f64 v[2:3], v[68:69], v[2:3]
	v_fma_f64 v[60:61], v[62:63], s[8:9], -v[66:67]
	v_add_f64 v[0:1], v[70:71], v[0:1]
	v_mul_f64 v[62:63], v[48:49], s[26:27]
	v_fma_f64 v[66:67], v[52:53], s[8:9], -v[8:9]
	v_mul_f64 v[64:65], v[50:51], s[26:27]
	v_mul_f64 v[48:49], v[48:49], s[14:15]
	;; [unrolled: 1-line block ×3, first 2 shown]
	v_fma_f64 v[78:79], v[54:55], s[6:7], v[58:59]
	v_fma_f64 v[70:71], v[54:55], s[8:9], v[72:73]
	v_add_f64 v[14:15], v[127:128], v[14:15]
	v_fma_f64 v[8:9], v[52:53], s[8:9], v[8:9]
	v_fma_f64 v[38:39], v[54:55], s[8:9], -v[72:73]
	v_add_f64 v[26:27], v[6:7], v[26:27]
	v_add_f64 v[68:69], v[76:77], v[80:81]
	;; [unrolled: 1-line block ×6, first 2 shown]
	v_fma_f64 v[40:41], v[52:53], s[6:7], v[56:57]
	v_add_f64 v[10:11], v[44:45], v[10:11]
	v_fma_f64 v[42:43], v[54:55], s[6:7], -v[58:59]
	v_add_f64 v[2:3], v[46:47], v[2:3]
	v_add_f64 v[54:55], v[121:122], v[32:33]
	;; [unrolled: 1-line block ×3, first 2 shown]
	v_fma_f64 v[32:33], v[28:29], s[4:5], -v[62:63]
	v_fma_f64 v[119:120], v[30:31], s[20:21], -v[141:142]
	v_fma_f64 v[58:59], v[30:31], s[4:5], v[64:65]
	v_fma_f64 v[60:61], v[28:29], s[18:19], -v[48:49]
	v_fma_f64 v[44:45], v[28:29], s[6:7], -v[103:104]
	v_add_f64 v[46:47], v[143:144], v[113:114]
	v_fma_f64 v[52:53], v[30:31], s[6:7], v[129:130]
	v_add_f64 v[70:71], v[70:71], v[14:15]
	v_add_f64 v[89:90], v[123:124], v[89:90]
	v_fma_f64 v[123:124], v[30:31], s[20:21], v[141:142]
	v_fma_f64 v[165:166], v[30:31], s[8:9], -v[111:112]
	v_add_f64 v[56:57], v[66:67], v[68:69]
	v_fma_f64 v[68:69], v[30:31], s[18:19], v[50:51]
	v_add_f64 v[12:13], v[78:79], v[12:13]
	v_add_f64 v[66:67], v[74:75], v[76:77]
	v_fma_f64 v[99:100], v[28:29], s[8:9], -v[99:100]
	v_fma_f64 v[111:112], v[30:31], s[8:9], v[111:112]
	v_add_f64 v[125:126], v[169:170], v[125:126]
	v_fma_f64 v[101:102], v[28:29], s[6:7], v[103:104]
	v_fma_f64 v[141:142], v[30:31], s[6:7], -v[129:130]
	v_fma_f64 v[62:63], v[28:29], s[4:5], v[62:63]
	v_add_f64 v[74:75], v[8:9], v[36:37]
	v_fma_f64 v[64:65], v[30:31], s[4:5], -v[64:65]
	v_add_f64 v[38:39], v[38:39], v[10:11]
	v_fma_f64 v[48:49], v[28:29], s[18:19], v[48:49]
	v_add_f64 v[76:77], v[40:41], v[2:3]
	v_fma_f64 v[50:51], v[30:31], s[18:19], -v[50:51]
	v_add_f64 v[42:43], v[42:43], v[0:1]
	v_add_f64 v[30:31], v[72:73], v[20:21]
	;; [unrolled: 1-line block ×23, first 2 shown]
	v_mul_i32_i24_e32 v20, 0xb0, v88
	v_add3_u32 v20, 0, v20, v108
	ds_write_b128 v20, v[30:33]
	ds_write_b128 v20, v[26:29] offset:16
	ds_write_b128 v20, v[22:25] offset:32
	;; [unrolled: 1-line block ×10, first 2 shown]
.LBB0_14:
	s_or_b32 exec_lo, exec_lo, s1
	v_add_nc_u32_e32 v89, 22, v94
	v_lshlrev_b32_e32 v97, 2, v94
	v_mov_b32_e32 v98, 0
	s_waitcnt lgkmcnt(0)
	s_barrier
	v_and_b32_e32 v2, 0xff, v89
	buffer_gl0_inv
	v_lshlrev_b64 v[0:1], 4, v[97:98]
	v_lshlrev_b32_e32 v97, 1, v94
	v_lshlrev_b32_e32 v99, 1, v88
	v_mul_lo_u16 v2, 0x75, v2
	v_mov_b32_e32 v100, v98
	v_mov_b32_e32 v113, v98
	v_add_co_u32 v0, s0, s12, v0
	v_lshrrev_b16 v2, 8, v2
	v_add_co_ci_u32_e64 v1, s0, s13, v1, s0
	v_add_nc_u32_e32 v112, 0x42, v97
	v_lshlrev_b64 v[116:117], 4, v[99:100]
	v_sub_nc_u16 v3, v89, v2
	s_clause 0x3
	global_load_dwordx4 v[52:55], v[0:1], off
	global_load_dwordx4 v[48:51], v[0:1], off offset:16
	global_load_dwordx4 v[44:47], v[0:1], off offset:32
	;; [unrolled: 1-line block ×3, first 2 shown]
	v_mov_b32_e32 v1, 6
	v_lshlrev_b64 v[99:100], 4, v[112:113]
	v_lshrrev_b16 v0, 1, v3
	v_lshlrev_b32_e32 v90, 4, v88
	v_lshlrev_b32_e32 v101, 1, v89
	v_mov_b32_e32 v111, 4
	v_mov_b32_e32 v102, v98
	v_and_b32_e32 v0, 0x7f, v0
	v_add3_u32 v109, 0, v90, v108
	v_lshlrev_b64 v[114:115], 4, v[97:98]
	v_add_nc_u32_e32 v97, 0x58, v97
	v_lshlrev_b64 v[103:104], 4, v[101:102]
	v_add_nc_u16 v0, v0, v2
	s_mov_b32 s8, 0x134454ff
	s_mov_b32 s9, 0xbfee6f0e
	v_lshlrev_b64 v[101:102], 4, v[97:98]
	s_mov_b32 s17, 0x3fee6f0e
	v_lshrrev_b16 v0, 3, v0
	s_mov_b32 s16, s8
	s_mov_b32 s6, 0x4755a5e
	;; [unrolled: 1-line block ×4, first 2 shown]
	v_mul_lo_u16 v0, v0, 11
	s_mov_b32 s14, s6
	s_mov_b32 s4, 0x372fe950
	;; [unrolled: 1-line block ×3, first 2 shown]
	v_add_co_u32 v114, s0, s12, v114
	v_sub_nc_u16 v110, v89, v0
	v_add_co_ci_u32_e64 v115, s0, s13, v115, s0
	v_add_co_u32 v116, s0, s12, v116
	v_lshlrev_b32_sdwa v0, v1, v110 dst_sel:DWORD dst_unused:UNUSED_PAD src0_sel:DWORD src1_sel:BYTE_0
	v_lshlrev_b32_sdwa v97, v111, v110 dst_sel:DWORD dst_unused:UNUSED_PAD src0_sel:DWORD src1_sel:BYTE_0
	v_add_co_ci_u32_e64 v117, s0, s13, v117, s0
	s_clause 0x3
	global_load_dwordx4 v[20:23], v0, s[12:13]
	global_load_dwordx4 v[16:19], v0, s[12:13] offset:16
	global_load_dwordx4 v[12:15], v0, s[12:13] offset:32
	;; [unrolled: 1-line block ×3, first 2 shown]
	ds_read_b128 v[80:83], v106 offset:528
	ds_read_b128 v[60:63], v106 offset:704
	;; [unrolled: 1-line block ×4, first 2 shown]
	ds_read_b128 v[4:7], v107
	ds_read_b128 v[0:3], v106 offset:352
	ds_read_b128 v[84:87], v106 offset:1056
	;; [unrolled: 1-line block ×9, first 2 shown]
	ds_read_b128 v[88:91], v109
	s_waitcnt vmcnt(0) lgkmcnt(0)
	s_barrier
	buffer_gl0_inv
	v_mul_f64 v[120:121], v[86:87], v[50:51]
	v_mul_f64 v[112:113], v[82:83], v[54:55]
	;; [unrolled: 1-line block ×16, first 2 shown]
	v_fma_f64 v[84:85], v[84:85], v[48:49], v[120:121]
	v_fma_f64 v[80:81], v[80:81], v[52:53], v[112:113]
	v_fma_f64 v[82:83], v[82:83], v[52:53], -v[118:119]
	v_fma_f64 v[86:87], v[86:87], v[48:49], -v[122:123]
	v_fma_f64 v[76:77], v[76:77], v[44:45], v[124:125]
	v_fma_f64 v[74:75], v[74:75], v[40:41], -v[126:127]
	v_fma_f64 v[78:79], v[78:79], v[44:45], -v[128:129]
	v_fma_f64 v[72:73], v[72:73], v[40:41], v[130:131]
	v_fma_f64 v[60:61], v[60:61], v[52:53], v[132:133]
	v_fma_f64 v[52:53], v[62:63], v[52:53], -v[54:55]
	v_fma_f64 v[54:55], v[64:65], v[48:49], v[134:135]
	v_fma_f64 v[48:49], v[66:67], v[48:49], -v[50:51]
	;; [unrolled: 2-line block ×4, first 2 shown]
	v_mul_f64 v[42:43], v[26:27], v[22:23]
	v_mul_f64 v[22:23], v[24:25], v[22:23]
	;; [unrolled: 1-line block ×8, first 2 shown]
	v_add_f64 v[64:65], v[4:5], v[80:81]
	v_add_f64 v[124:125], v[6:7], v[82:83]
	;; [unrolled: 1-line block ×3, first 2 shown]
	v_add_f64 v[68:69], v[82:83], -v[74:75]
	v_add_f64 v[126:127], v[86:87], v[78:79]
	v_add_f64 v[118:119], v[80:81], v[72:73]
	;; [unrolled: 1-line block ×3, first 2 shown]
	v_add_f64 v[130:131], v[82:83], -v[86:87]
	v_add_f64 v[134:135], v[82:83], v[74:75]
	v_add_f64 v[82:83], v[86:87], -v[82:83]
	v_add_f64 v[140:141], v[54:55], v[50:51]
	;; [unrolled: 2-line block ×3, first 2 shown]
	v_add_f64 v[158:159], v[48:49], v[44:45]
	v_fma_f64 v[24:25], v[24:25], v[20:21], v[42:43]
	v_fma_f64 v[20:21], v[26:27], v[20:21], -v[22:23]
	v_fma_f64 v[22:23], v[28:29], v[16:17], v[56:57]
	v_fma_f64 v[16:17], v[30:31], v[16:17], -v[18:19]
	;; [unrolled: 2-line block ×3, first 2 shown]
	v_fma_f64 v[42:43], v[36:37], v[8:9], v[62:63]
	v_add_f64 v[164:165], v[52:53], v[40:41]
	v_fma_f64 v[56:57], v[38:39], v[8:9], -v[10:11]
	v_add_f64 v[156:157], v[90:91], v[52:53]
	v_add_f64 v[110:111], v[80:81], -v[84:85]
	v_add_f64 v[112:113], v[72:73], -v[76:77]
	;; [unrolled: 1-line block ×8, first 2 shown]
	v_add_f64 v[8:9], v[64:65], v[84:85]
	v_fma_f64 v[10:11], v[66:67], -0.5, v[4:5]
	v_fma_f64 v[4:5], v[118:119], -0.5, v[4:5]
	v_add_f64 v[14:15], v[124:125], v[86:87]
	v_fma_f64 v[26:27], v[126:127], -0.5, v[6:7]
	v_add_f64 v[32:33], v[138:139], v[54:55]
	v_fma_f64 v[34:35], v[140:141], -0.5, v[88:89]
	v_fma_f64 v[38:39], v[150:151], -0.5, v[88:89]
	v_add_f64 v[84:85], v[22:23], v[18:19]
	v_add_f64 v[88:89], v[16:17], v[12:13]
	;; [unrolled: 1-line block ×3, first 2 shown]
	v_add_f64 v[146:147], v[60:61], -v[54:55]
	v_add_f64 v[152:153], v[54:55], -v[60:61]
	;; [unrolled: 1-line block ×3, first 2 shown]
	v_fma_f64 v[6:7], v[134:135], -0.5, v[6:7]
	v_add_f64 v[54:55], v[82:83], v[136:137]
	v_fma_f64 v[62:63], v[158:159], -0.5, v[90:91]
	v_fma_f64 v[82:83], v[164:165], -0.5, v[90:91]
	v_add_f64 v[90:91], v[20:21], v[56:57]
	v_add_f64 v[142:143], v[52:53], -v[40:41]
	v_add_f64 v[144:145], v[48:49], -v[44:45]
	;; [unrolled: 1-line block ×6, first 2 shown]
	v_add_f64 v[48:49], v[156:157], v[48:49]
	v_add_f64 v[28:29], v[110:111], v[112:113]
	;; [unrolled: 1-line block ×6, first 2 shown]
	v_add_f64 v[112:113], v[20:21], -v[56:57]
	v_add_f64 v[118:119], v[16:17], -v[12:13]
	;; [unrolled: 1-line block ×10, first 2 shown]
	v_add_f64 v[8:9], v[8:9], v[76:77]
	v_fma_f64 v[76:77], v[68:69], s[8:9], v[10:11]
	v_fma_f64 v[140:141], v[70:71], s[16:17], v[4:5]
	;; [unrolled: 1-line block ×3, first 2 shown]
	v_add_f64 v[14:15], v[14:15], v[78:79]
	v_fma_f64 v[78:79], v[80:81], s[16:17], v[26:27]
	v_add_f64 v[32:33], v[32:33], v[50:51]
	v_fma_f64 v[84:85], v[84:85], -0.5, v[0:1]
	v_fma_f64 v[86:87], v[86:87], -0.5, v[0:1]
	;; [unrolled: 1-line block ×3, first 2 shown]
	v_add_f64 v[154:155], v[50:51], -v[46:47]
	v_add_f64 v[132:133], v[22:23], -v[18:19]
	v_fma_f64 v[10:11], v[68:69], s[16:17], v[10:11]
	v_fma_f64 v[50:51], v[128:129], s[8:9], v[6:7]
	;; [unrolled: 1-line block ×3, first 2 shown]
	v_fma_f64 v[90:91], v[90:91], -0.5, v[2:3]
	v_fma_f64 v[26:27], v[80:81], s[8:9], v[26:27]
	v_add_f64 v[162:163], v[40:41], -v[44:45]
	v_add_f64 v[166:167], v[44:45], -v[40:41]
	v_add_f64 v[58:59], v[146:147], v[148:149]
	v_fma_f64 v[146:147], v[142:143], s[8:9], v[34:35]
	v_add_f64 v[44:45], v[48:49], v[44:45]
	v_fma_f64 v[48:49], v[60:61], s[16:17], v[62:63]
	v_fma_f64 v[34:35], v[142:143], s[16:17], v[34:35]
	;; [unrolled: 1-line block ×7, first 2 shown]
	v_add_f64 v[22:23], v[110:111], v[22:23]
	v_add_f64 v[16:17], v[130:131], v[16:17]
	v_add_f64 v[136:137], v[56:57], -v[12:13]
	v_add_f64 v[110:111], v[120:121], v[122:123]
	v_add_f64 v[120:121], v[124:125], v[126:127]
	;; [unrolled: 1-line block ×4, first 2 shown]
	v_fma_f64 v[8:9], v[70:71], s[6:7], v[76:77]
	v_fma_f64 v[20:21], v[68:69], s[6:7], v[140:141]
	;; [unrolled: 1-line block ×3, first 2 shown]
	v_add_f64 v[2:3], v[14:15], v[74:75]
	v_fma_f64 v[14:15], v[128:129], s[14:15], v[78:79]
	v_add_f64 v[4:5], v[32:33], v[46:47]
	v_fma_f64 v[46:47], v[112:113], s[8:9], v[84:85]
	v_fma_f64 v[72:73], v[112:113], s[16:17], v[84:85]
	;; [unrolled: 1-line block ×12, first 2 shown]
	v_add_f64 v[66:67], v[160:161], v[162:163]
	v_fma_f64 v[32:33], v[144:145], s[6:7], v[146:147]
	v_add_f64 v[6:7], v[44:45], v[40:41]
	v_fma_f64 v[40:41], v[168:169], s[14:15], v[48:49]
	v_add_f64 v[64:65], v[152:153], v[154:155]
	v_add_f64 v[52:53], v[52:53], v[166:167]
	v_fma_f64 v[34:35], v[144:145], s[14:15], v[34:35]
	v_fma_f64 v[88:89], v[142:143], s[6:7], v[148:149]
	;; [unrolled: 1-line block ×6, first 2 shown]
	v_add_f64 v[62:63], v[22:23], v[18:19]
	v_add_f64 v[82:83], v[16:17], v[12:13]
	;; [unrolled: 1-line block ×3, first 2 shown]
	v_fma_f64 v[16:17], v[30:31], s[4:5], v[20:21]
	v_fma_f64 v[20:21], v[30:31], s[4:5], v[68:69]
	;; [unrolled: 1-line block ×24, first 2 shown]
	v_add_f64 v[40:41], v[62:63], v[42:43]
	v_add_f64 v[42:43], v[82:83], v[56:57]
	v_fma_f64 v[44:45], v[110:111], s[4:5], v[46:47]
	v_fma_f64 v[52:53], v[120:121], s[4:5], v[72:73]
	v_fma_f64 v[46:47], v[122:123], s[4:5], v[76:77]
	v_fma_f64 v[54:55], v[124:125], s[4:5], v[78:79]
	v_fma_f64 v[56:57], v[120:121], s[4:5], v[74:75]
	v_fma_f64 v[58:59], v[124:125], s[4:5], v[80:81]
	v_fma_f64 v[48:49], v[110:111], s[4:5], v[68:69]
	v_fma_f64 v[50:51], v[122:123], s[4:5], v[84:85]
	v_add_co_u32 v60, s0, s12, v103
	v_add3_u32 v62, 0, v97, v108
	ds_write_b128 v106, v[0:3]
	ds_write_b128 v106, v[4:7] offset:880
	ds_write_b128 v106, v[8:11] offset:176
	;; [unrolled: 1-line block ×14, first 2 shown]
	s_waitcnt lgkmcnt(0)
	s_barrier
	buffer_gl0_inv
	s_clause 0x1
	global_load_dwordx4 v[0:3], v[114:115], off offset:704
	global_load_dwordx4 v[4:7], v[114:115], off offset:720
	v_add_co_ci_u32_e64 v61, s0, s13, v104, s0
	v_add_co_u32 v28, s0, s12, v99
	v_add_co_ci_u32_e64 v29, s0, s13, v100, s0
	s_clause 0x3
	global_load_dwordx4 v[8:11], v[116:117], off offset:704
	global_load_dwordx4 v[12:15], v[116:117], off offset:720
	;; [unrolled: 1-line block ×4, first 2 shown]
	v_add_co_u32 v36, s0, s12, v101
	v_add_co_ci_u32_e64 v37, s0, s13, v102, s0
	s_clause 0x3
	global_load_dwordx4 v[24:27], v[28:29], off offset:704
	global_load_dwordx4 v[28:31], v[28:29], off offset:720
	global_load_dwordx4 v[32:35], v[36:37], off offset:704
	global_load_dwordx4 v[36:39], v[36:37], off offset:720
	ds_read_b128 v[40:43], v106 offset:880
	ds_read_b128 v[44:47], v106 offset:1760
	;; [unrolled: 1-line block ×10, first 2 shown]
	ds_read_b128 v[80:83], v109
	s_mov_b32 s0, 0xe8584caa
	s_mov_b32 s1, 0xbfebb67a
	;; [unrolled: 1-line block ×4, first 2 shown]
	s_waitcnt vmcnt(9) lgkmcnt(10)
	v_mul_f64 v[84:85], v[42:43], v[2:3]
	v_mul_f64 v[2:3], v[40:41], v[2:3]
	s_waitcnt vmcnt(8) lgkmcnt(9)
	v_mul_f64 v[86:87], v[46:47], v[6:7]
	v_mul_f64 v[6:7], v[44:45], v[6:7]
	;; [unrolled: 3-line block ×10, first 2 shown]
	v_fma_f64 v[40:41], v[40:41], v[0:1], v[84:85]
	v_fma_f64 v[42:43], v[42:43], v[0:1], -v[2:3]
	v_fma_f64 v[44:45], v[44:45], v[4:5], v[86:87]
	v_fma_f64 v[46:47], v[46:47], v[4:5], -v[6:7]
	ds_read_b128 v[0:3], v107
	ds_read_b128 v[4:7], v106 offset:352
	v_fma_f64 v[48:49], v[48:49], v[8:9], v[88:89]
	v_fma_f64 v[50:51], v[50:51], v[8:9], -v[10:11]
	v_fma_f64 v[52:53], v[52:53], v[12:13], v[90:91]
	v_fma_f64 v[54:55], v[54:55], v[12:13], -v[14:15]
	;; [unrolled: 2-line block ×8, first 2 shown]
	ds_read_b128 v[8:11], v106 offset:528
	ds_read_b128 v[12:15], v106 offset:704
	s_waitcnt lgkmcnt(0)
	v_add_f64 v[62:63], v[2:3], v[42:43]
	v_add_f64 v[58:59], v[40:41], v[44:45]
	v_add_f64 v[60:61], v[42:43], -v[46:47]
	v_add_f64 v[42:43], v[42:43], v[46:47]
	v_add_f64 v[38:39], v[0:1], v[40:41]
	;; [unrolled: 1-line block ×4, first 2 shown]
	v_add_f64 v[68:69], v[50:51], -v[54:55]
	v_add_f64 v[50:51], v[50:51], v[54:55]
	v_add_f64 v[78:79], v[6:7], v[16:17]
	;; [unrolled: 1-line block ×3, first 2 shown]
	v_add_f64 v[76:77], v[16:17], -v[20:21]
	v_add_f64 v[16:17], v[16:17], v[20:21]
	v_add_f64 v[40:41], v[40:41], -v[44:45]
	v_add_f64 v[84:85], v[22:23], v[26:27]
	v_add_f64 v[88:89], v[24:25], v[28:29]
	v_add_f64 v[103:104], v[22:23], -v[26:27]
	v_add_f64 v[86:87], v[8:9], v[22:23]
	v_add_f64 v[99:100], v[30:31], v[34:35]
	;; [unrolled: 1-line block ×5, first 2 shown]
	v_add_f64 v[110:111], v[32:33], -v[36:37]
	v_fma_f64 v[58:59], v[58:59], -0.5, v[0:1]
	v_add_f64 v[90:91], v[24:25], -v[28:29]
	v_fma_f64 v[32:33], v[42:43], -0.5, v[2:3]
	v_add_f64 v[24:25], v[10:11], v[24:25]
	v_add_f64 v[64:65], v[80:81], v[48:49]
	v_add_f64 v[48:49], v[48:49], -v[52:53]
	v_add_f64 v[112:113], v[30:31], -v[34:35]
	v_fma_f64 v[30:31], v[66:67], -0.5, v[80:81]
	v_add_f64 v[0:1], v[38:39], v[44:45]
	v_fma_f64 v[38:39], v[50:51], -0.5, v[82:83]
	v_add_f64 v[72:73], v[4:5], v[56:57]
	v_add_f64 v[56:57], v[56:57], -v[18:19]
	v_fma_f64 v[42:43], v[74:75], -0.5, v[4:5]
	v_fma_f64 v[44:45], v[16:17], -0.5, v[6:7]
	v_add_f64 v[2:3], v[62:63], v[46:47]
	v_fma_f64 v[46:47], v[84:85], -0.5, v[8:9]
	v_fma_f64 v[50:51], v[88:89], -0.5, v[10:11]
	v_add_f64 v[6:7], v[70:71], v[54:55]
	v_fma_f64 v[54:55], v[99:100], -0.5, v[12:13]
	v_fma_f64 v[62:63], v[101:102], -0.5, v[14:15]
	v_add_f64 v[10:11], v[78:79], v[20:21]
	v_add_f64 v[16:17], v[22:23], v[34:35]
	v_fma_f64 v[20:21], v[60:61], s[0:1], v[58:59]
	v_add_f64 v[12:13], v[86:87], v[26:27]
	v_fma_f64 v[22:23], v[40:41], s[4:5], v[32:33]
	;; [unrolled: 2-line block ×3, first 2 shown]
	v_fma_f64 v[26:27], v[40:41], s[0:1], v[32:33]
	v_add_f64 v[4:5], v[64:65], v[52:53]
	v_fma_f64 v[28:29], v[68:69], s[0:1], v[30:31]
	v_fma_f64 v[32:33], v[68:69], s[4:5], v[30:31]
	;; [unrolled: 1-line block ×4, first 2 shown]
	v_add_f64 v[8:9], v[72:73], v[18:19]
	v_add_f64 v[18:19], v[107:108], v[36:37]
	v_fma_f64 v[36:37], v[76:77], s[0:1], v[42:43]
	v_fma_f64 v[38:39], v[56:57], s[4:5], v[44:45]
	;; [unrolled: 1-line block ×12, first 2 shown]
	s_barrier
	buffer_gl0_inv
	ds_write_b128 v106, v[0:3]
	ds_write_b128 v106, v[20:23] offset:880
	ds_write_b128 v106, v[24:27] offset:1760
	ds_write_b128 v109, v[4:7]
	ds_write_b128 v109, v[28:31] offset:880
	ds_write_b128 v109, v[32:35] offset:1760
	;; [unrolled: 1-line block ×11, first 2 shown]
	s_waitcnt lgkmcnt(0)
	s_barrier
	buffer_gl0_inv
	s_and_saveexec_b32 s0, vcc_lo
	s_cbranch_execz .LBB0_16
; %bb.15:
	v_mul_lo_u32 v2, s3, v95
	v_mul_lo_u32 v3, s2, v96
	v_mad_u64_u32 v[0:1], null, s2, v95, 0
	v_lshl_add_u32 v26, v94, 4, v105
	v_mov_b32_e32 v95, v98
	v_lshlrev_b64 v[8:9], 4, v[92:93]
	v_add_nc_u32_e32 v97, 11, v94
	v_add3_u32 v1, v1, v3, v2
	v_lshlrev_b64 v[12:13], 4, v[94:95]
	v_lshlrev_b64 v[10:11], 4, v[0:1]
	ds_read_b128 v[0:3], v26
	ds_read_b128 v[4:7], v26 offset:176
	v_add_co_u32 v14, vcc_lo, s10, v10
	v_add_co_ci_u32_e32 v15, vcc_lo, s11, v11, vcc_lo
	v_lshlrev_b64 v[10:11], 4, v[97:98]
	v_add_co_u32 v30, vcc_lo, v14, v8
	v_add_co_ci_u32_e32 v31, vcc_lo, v15, v9, vcc_lo
	v_add_nc_u32_e32 v97, 22, v94
	v_add_co_u32 v8, vcc_lo, v30, v12
	v_add_co_ci_u32_e32 v9, vcc_lo, v31, v13, vcc_lo
	v_lshlrev_b64 v[12:13], 4, v[97:98]
	v_add_co_u32 v10, vcc_lo, v30, v10
	v_add_co_ci_u32_e32 v11, vcc_lo, v31, v11, vcc_lo
	v_add_nc_u32_e32 v97, 33, v94
	v_add_co_u32 v18, vcc_lo, v30, v12
	s_waitcnt lgkmcnt(1)
	global_store_dwordx4 v[8:9], v[0:3], off
	s_waitcnt lgkmcnt(0)
	global_store_dwordx4 v[10:11], v[4:7], off
	v_add_co_ci_u32_e32 v19, vcc_lo, v31, v13, vcc_lo
	v_lshlrev_b64 v[16:17], 4, v[97:98]
	v_add_nc_u32_e32 v97, 44, v94
	ds_read_b128 v[0:3], v26 offset:352
	ds_read_b128 v[4:7], v26 offset:528
	ds_read_b128 v[8:11], v26 offset:704
	ds_read_b128 v[12:15], v26 offset:880
	v_lshlrev_b64 v[20:21], 4, v[97:98]
	v_add_nc_u32_e32 v97, 55, v94
	v_add_co_u32 v16, vcc_lo, v30, v16
	v_add_co_ci_u32_e32 v17, vcc_lo, v31, v17, vcc_lo
	v_lshlrev_b64 v[22:23], 4, v[97:98]
	v_add_nc_u32_e32 v97, 0x42, v94
	v_add_co_u32 v20, vcc_lo, v30, v20
	v_add_co_ci_u32_e32 v21, vcc_lo, v31, v21, vcc_lo
	v_add_co_u32 v22, vcc_lo, v30, v22
	v_lshlrev_b64 v[24:25], 4, v[97:98]
	v_add_nc_u32_e32 v97, 0x4d, v94
	v_add_co_ci_u32_e32 v23, vcc_lo, v31, v23, vcc_lo
	s_waitcnt lgkmcnt(3)
	global_store_dwordx4 v[18:19], v[0:3], off
	s_waitcnt lgkmcnt(2)
	global_store_dwordx4 v[16:17], v[4:7], off
	;; [unrolled: 2-line block ×4, first 2 shown]
	ds_read_b128 v[0:3], v26 offset:1056
	ds_read_b128 v[4:7], v26 offset:1232
	v_lshlrev_b64 v[16:17], 4, v[97:98]
	v_add_nc_u32_e32 v97, 0x58, v94
	ds_read_b128 v[8:11], v26 offset:1408
	ds_read_b128 v[12:15], v26 offset:1584
	v_add_co_u32 v18, vcc_lo, v30, v24
	v_add_co_ci_u32_e32 v19, vcc_lo, v31, v25, vcc_lo
	v_lshlrev_b64 v[20:21], 4, v[97:98]
	v_add_nc_u32_e32 v97, 0x63, v94
	v_add_co_u32 v16, vcc_lo, v30, v16
	v_add_co_ci_u32_e32 v17, vcc_lo, v31, v17, vcc_lo
	v_lshlrev_b64 v[22:23], 4, v[97:98]
	v_add_nc_u32_e32 v97, 0x6e, v94
	;; [unrolled: 4-line block ×3, first 2 shown]
	v_add_co_u32 v22, vcc_lo, v30, v22
	v_add_co_ci_u32_e32 v23, vcc_lo, v31, v23, vcc_lo
	s_waitcnt lgkmcnt(3)
	global_store_dwordx4 v[18:19], v[0:3], off
	s_waitcnt lgkmcnt(2)
	global_store_dwordx4 v[16:17], v[4:7], off
	;; [unrolled: 2-line block ×4, first 2 shown]
	v_lshlrev_b64 v[8:9], 4, v[97:98]
	v_add_co_u32 v20, vcc_lo, v30, v24
	v_add_nc_u32_e32 v97, 0x84, v94
	v_add_co_ci_u32_e32 v21, vcc_lo, v31, v25, vcc_lo
	v_add_co_u32 v24, vcc_lo, v30, v8
	ds_read_b128 v[0:3], v26 offset:1760
	ds_read_b128 v[4:7], v26 offset:1936
	v_add_co_ci_u32_e32 v25, vcc_lo, v31, v9, vcc_lo
	ds_read_b128 v[8:11], v26 offset:2112
	ds_read_b128 v[12:15], v26 offset:2288
	;; [unrolled: 1-line block ×3, first 2 shown]
	v_lshlrev_b64 v[22:23], 4, v[97:98]
	v_add_nc_u32_e32 v97, 0x8f, v94
	v_lshlrev_b64 v[26:27], 4, v[97:98]
	v_add_nc_u32_e32 v97, 0x9a, v94
	v_add_co_u32 v22, vcc_lo, v30, v22
	v_add_co_ci_u32_e32 v23, vcc_lo, v31, v23, vcc_lo
	v_lshlrev_b64 v[28:29], 4, v[97:98]
	v_add_co_u32 v26, vcc_lo, v30, v26
	v_add_co_ci_u32_e32 v27, vcc_lo, v31, v27, vcc_lo
	v_add_co_u32 v28, vcc_lo, v30, v28
	v_add_co_ci_u32_e32 v29, vcc_lo, v31, v29, vcc_lo
	s_waitcnt lgkmcnt(4)
	global_store_dwordx4 v[20:21], v[0:3], off
	s_waitcnt lgkmcnt(3)
	global_store_dwordx4 v[24:25], v[4:7], off
	;; [unrolled: 2-line block ×5, first 2 shown]
.LBB0_16:
	s_endpgm
	.section	.rodata,"a",@progbits
	.p2align	6, 0x0
	.amdhsa_kernel fft_rtc_back_len165_factors_11_5_3_wgs_55_tpt_11_dp_op_CI_CI_unitstride_sbrr_dirReg
		.amdhsa_group_segment_fixed_size 0
		.amdhsa_private_segment_fixed_size 0
		.amdhsa_kernarg_size 104
		.amdhsa_user_sgpr_count 6
		.amdhsa_user_sgpr_private_segment_buffer 1
		.amdhsa_user_sgpr_dispatch_ptr 0
		.amdhsa_user_sgpr_queue_ptr 0
		.amdhsa_user_sgpr_kernarg_segment_ptr 1
		.amdhsa_user_sgpr_dispatch_id 0
		.amdhsa_user_sgpr_flat_scratch_init 0
		.amdhsa_user_sgpr_private_segment_size 0
		.amdhsa_wavefront_size32 1
		.amdhsa_uses_dynamic_stack 0
		.amdhsa_system_sgpr_private_segment_wavefront_offset 0
		.amdhsa_system_sgpr_workgroup_id_x 1
		.amdhsa_system_sgpr_workgroup_id_y 0
		.amdhsa_system_sgpr_workgroup_id_z 0
		.amdhsa_system_sgpr_workgroup_info 0
		.amdhsa_system_vgpr_workitem_id 0
		.amdhsa_next_free_vgpr 171
		.amdhsa_next_free_sgpr 38
		.amdhsa_reserve_vcc 1
		.amdhsa_reserve_flat_scratch 0
		.amdhsa_float_round_mode_32 0
		.amdhsa_float_round_mode_16_64 0
		.amdhsa_float_denorm_mode_32 3
		.amdhsa_float_denorm_mode_16_64 3
		.amdhsa_dx10_clamp 1
		.amdhsa_ieee_mode 1
		.amdhsa_fp16_overflow 0
		.amdhsa_workgroup_processor_mode 1
		.amdhsa_memory_ordered 1
		.amdhsa_forward_progress 0
		.amdhsa_shared_vgpr_count 0
		.amdhsa_exception_fp_ieee_invalid_op 0
		.amdhsa_exception_fp_denorm_src 0
		.amdhsa_exception_fp_ieee_div_zero 0
		.amdhsa_exception_fp_ieee_overflow 0
		.amdhsa_exception_fp_ieee_underflow 0
		.amdhsa_exception_fp_ieee_inexact 0
		.amdhsa_exception_int_div_zero 0
	.end_amdhsa_kernel
	.text
.Lfunc_end0:
	.size	fft_rtc_back_len165_factors_11_5_3_wgs_55_tpt_11_dp_op_CI_CI_unitstride_sbrr_dirReg, .Lfunc_end0-fft_rtc_back_len165_factors_11_5_3_wgs_55_tpt_11_dp_op_CI_CI_unitstride_sbrr_dirReg
                                        ; -- End function
	.section	.AMDGPU.csdata,"",@progbits
; Kernel info:
; codeLenInByte = 11648
; NumSgprs: 40
; NumVgprs: 171
; ScratchSize: 0
; MemoryBound: 0
; FloatMode: 240
; IeeeMode: 1
; LDSByteSize: 0 bytes/workgroup (compile time only)
; SGPRBlocks: 4
; VGPRBlocks: 21
; NumSGPRsForWavesPerEU: 40
; NumVGPRsForWavesPerEU: 171
; Occupancy: 5
; WaveLimiterHint : 1
; COMPUTE_PGM_RSRC2:SCRATCH_EN: 0
; COMPUTE_PGM_RSRC2:USER_SGPR: 6
; COMPUTE_PGM_RSRC2:TRAP_HANDLER: 0
; COMPUTE_PGM_RSRC2:TGID_X_EN: 1
; COMPUTE_PGM_RSRC2:TGID_Y_EN: 0
; COMPUTE_PGM_RSRC2:TGID_Z_EN: 0
; COMPUTE_PGM_RSRC2:TIDIG_COMP_CNT: 0
	.text
	.p2alignl 6, 3214868480
	.fill 48, 4, 3214868480
	.type	__hip_cuid_4030bae9a9c7a050,@object ; @__hip_cuid_4030bae9a9c7a050
	.section	.bss,"aw",@nobits
	.globl	__hip_cuid_4030bae9a9c7a050
__hip_cuid_4030bae9a9c7a050:
	.byte	0                               ; 0x0
	.size	__hip_cuid_4030bae9a9c7a050, 1

	.ident	"AMD clang version 19.0.0git (https://github.com/RadeonOpenCompute/llvm-project roc-6.4.0 25133 c7fe45cf4b819c5991fe208aaa96edf142730f1d)"
	.section	".note.GNU-stack","",@progbits
	.addrsig
	.addrsig_sym __hip_cuid_4030bae9a9c7a050
	.amdgpu_metadata
---
amdhsa.kernels:
  - .args:
      - .actual_access:  read_only
        .address_space:  global
        .offset:         0
        .size:           8
        .value_kind:     global_buffer
      - .offset:         8
        .size:           8
        .value_kind:     by_value
      - .actual_access:  read_only
        .address_space:  global
        .offset:         16
        .size:           8
        .value_kind:     global_buffer
      - .actual_access:  read_only
        .address_space:  global
        .offset:         24
        .size:           8
        .value_kind:     global_buffer
      - .actual_access:  read_only
        .address_space:  global
        .offset:         32
        .size:           8
        .value_kind:     global_buffer
      - .offset:         40
        .size:           8
        .value_kind:     by_value
      - .actual_access:  read_only
        .address_space:  global
        .offset:         48
        .size:           8
        .value_kind:     global_buffer
      - .actual_access:  read_only
        .address_space:  global
        .offset:         56
        .size:           8
        .value_kind:     global_buffer
      - .offset:         64
        .size:           4
        .value_kind:     by_value
      - .actual_access:  read_only
        .address_space:  global
        .offset:         72
        .size:           8
        .value_kind:     global_buffer
      - .actual_access:  read_only
        .address_space:  global
        .offset:         80
        .size:           8
        .value_kind:     global_buffer
      - .actual_access:  read_only
        .address_space:  global
        .offset:         88
        .size:           8
        .value_kind:     global_buffer
      - .actual_access:  write_only
        .address_space:  global
        .offset:         96
        .size:           8
        .value_kind:     global_buffer
    .group_segment_fixed_size: 0
    .kernarg_segment_align: 8
    .kernarg_segment_size: 104
    .language:       OpenCL C
    .language_version:
      - 2
      - 0
    .max_flat_workgroup_size: 55
    .name:           fft_rtc_back_len165_factors_11_5_3_wgs_55_tpt_11_dp_op_CI_CI_unitstride_sbrr_dirReg
    .private_segment_fixed_size: 0
    .sgpr_count:     40
    .sgpr_spill_count: 0
    .symbol:         fft_rtc_back_len165_factors_11_5_3_wgs_55_tpt_11_dp_op_CI_CI_unitstride_sbrr_dirReg.kd
    .uniform_work_group_size: 1
    .uses_dynamic_stack: false
    .vgpr_count:     171
    .vgpr_spill_count: 0
    .wavefront_size: 32
    .workgroup_processor_mode: 1
amdhsa.target:   amdgcn-amd-amdhsa--gfx1030
amdhsa.version:
  - 1
  - 2
...

	.end_amdgpu_metadata
